;; amdgpu-corpus repo=ROCm/rocFFT kind=compiled arch=gfx906 opt=O3
	.text
	.amdgcn_target "amdgcn-amd-amdhsa--gfx906"
	.amdhsa_code_object_version 6
	.protected	fft_rtc_back_len144_factors_6_6_4_wgs_120_tpt_12_halfLds_sp_ip_CI_unitstride_sbrr_C2R_dirReg ; -- Begin function fft_rtc_back_len144_factors_6_6_4_wgs_120_tpt_12_halfLds_sp_ip_CI_unitstride_sbrr_C2R_dirReg
	.globl	fft_rtc_back_len144_factors_6_6_4_wgs_120_tpt_12_halfLds_sp_ip_CI_unitstride_sbrr_C2R_dirReg
	.p2align	8
	.type	fft_rtc_back_len144_factors_6_6_4_wgs_120_tpt_12_halfLds_sp_ip_CI_unitstride_sbrr_C2R_dirReg,@function
fft_rtc_back_len144_factors_6_6_4_wgs_120_tpt_12_halfLds_sp_ip_CI_unitstride_sbrr_C2R_dirReg: ; @fft_rtc_back_len144_factors_6_6_4_wgs_120_tpt_12_halfLds_sp_ip_CI_unitstride_sbrr_C2R_dirReg
; %bb.0:
	s_load_dwordx2 s[2:3], s[4:5], 0x50
	s_load_dwordx4 s[8:11], s[4:5], 0x0
	s_load_dwordx2 s[12:13], s[4:5], 0x18
	v_mul_u32_u24_e32 v1, 0x1556, v0
	v_lshrrev_b32_e32 v1, 16, v1
	v_mad_u64_u32 v[1:2], s[0:1], s6, 10, v[1:2]
	v_mov_b32_e32 v5, 0
	s_waitcnt lgkmcnt(0)
	v_cmp_lt_u64_e64 s[0:1], s[10:11], 2
	v_mov_b32_e32 v2, v5
	v_mov_b32_e32 v3, 0
	;; [unrolled: 1-line block ×3, first 2 shown]
	s_and_b64 vcc, exec, s[0:1]
	v_mov_b32_e32 v4, 0
	v_mov_b32_e32 v9, v1
	s_cbranch_vccnz .LBB0_8
; %bb.1:
	s_load_dwordx2 s[0:1], s[4:5], 0x10
	s_add_u32 s6, s12, 8
	s_addc_u32 s7, s13, 0
	v_mov_b32_e32 v3, 0
	v_mov_b32_e32 v8, v2
	s_waitcnt lgkmcnt(0)
	s_add_u32 s16, s0, 8
	s_mov_b64 s[14:15], 1
	v_mov_b32_e32 v4, 0
	s_addc_u32 s17, s1, 0
	v_mov_b32_e32 v7, v1
.LBB0_2:                                ; =>This Inner Loop Header: Depth=1
	s_load_dwordx2 s[18:19], s[16:17], 0x0
                                        ; implicit-def: $vgpr9_vgpr10
	s_waitcnt lgkmcnt(0)
	v_or_b32_e32 v6, s19, v8
	v_cmp_ne_u64_e32 vcc, 0, v[5:6]
	s_and_saveexec_b64 s[0:1], vcc
	s_xor_b64 s[20:21], exec, s[0:1]
	s_cbranch_execz .LBB0_4
; %bb.3:                                ;   in Loop: Header=BB0_2 Depth=1
	v_cvt_f32_u32_e32 v2, s18
	v_cvt_f32_u32_e32 v6, s19
	s_sub_u32 s0, 0, s18
	s_subb_u32 s1, 0, s19
	v_mac_f32_e32 v2, 0x4f800000, v6
	v_rcp_f32_e32 v2, v2
	v_mul_f32_e32 v2, 0x5f7ffffc, v2
	v_mul_f32_e32 v6, 0x2f800000, v2
	v_trunc_f32_e32 v6, v6
	v_mac_f32_e32 v2, 0xcf800000, v6
	v_cvt_u32_f32_e32 v6, v6
	v_cvt_u32_f32_e32 v2, v2
	v_mul_lo_u32 v9, s0, v6
	v_mul_hi_u32 v10, s0, v2
	v_mul_lo_u32 v12, s1, v2
	v_mul_lo_u32 v11, s0, v2
	v_add_u32_e32 v9, v10, v9
	v_add_u32_e32 v9, v9, v12
	v_mul_hi_u32 v10, v2, v11
	v_mul_lo_u32 v12, v2, v9
	v_mul_hi_u32 v14, v2, v9
	v_mul_hi_u32 v13, v6, v11
	v_mul_lo_u32 v11, v6, v11
	v_mul_hi_u32 v15, v6, v9
	v_add_co_u32_e32 v10, vcc, v10, v12
	v_addc_co_u32_e32 v12, vcc, 0, v14, vcc
	v_mul_lo_u32 v9, v6, v9
	v_add_co_u32_e32 v10, vcc, v10, v11
	v_addc_co_u32_e32 v10, vcc, v12, v13, vcc
	v_addc_co_u32_e32 v11, vcc, 0, v15, vcc
	v_add_co_u32_e32 v9, vcc, v10, v9
	v_addc_co_u32_e32 v10, vcc, 0, v11, vcc
	v_add_co_u32_e32 v2, vcc, v2, v9
	v_addc_co_u32_e32 v6, vcc, v6, v10, vcc
	v_mul_lo_u32 v9, s0, v6
	v_mul_hi_u32 v10, s0, v2
	v_mul_lo_u32 v11, s1, v2
	v_mul_lo_u32 v12, s0, v2
	v_add_u32_e32 v9, v10, v9
	v_add_u32_e32 v9, v9, v11
	v_mul_lo_u32 v13, v2, v9
	v_mul_hi_u32 v14, v2, v12
	v_mul_hi_u32 v15, v2, v9
	;; [unrolled: 1-line block ×3, first 2 shown]
	v_mul_lo_u32 v12, v6, v12
	v_mul_hi_u32 v10, v6, v9
	v_add_co_u32_e32 v13, vcc, v14, v13
	v_addc_co_u32_e32 v14, vcc, 0, v15, vcc
	v_mul_lo_u32 v9, v6, v9
	v_add_co_u32_e32 v12, vcc, v13, v12
	v_addc_co_u32_e32 v11, vcc, v14, v11, vcc
	v_addc_co_u32_e32 v10, vcc, 0, v10, vcc
	v_add_co_u32_e32 v9, vcc, v11, v9
	v_addc_co_u32_e32 v10, vcc, 0, v10, vcc
	v_add_co_u32_e32 v2, vcc, v2, v9
	v_addc_co_u32_e32 v6, vcc, v6, v10, vcc
	v_mad_u64_u32 v[9:10], s[0:1], v7, v6, 0
	v_mul_hi_u32 v11, v7, v2
	v_add_co_u32_e32 v13, vcc, v11, v9
	v_addc_co_u32_e32 v14, vcc, 0, v10, vcc
	v_mad_u64_u32 v[9:10], s[0:1], v8, v2, 0
	v_mad_u64_u32 v[11:12], s[0:1], v8, v6, 0
	v_add_co_u32_e32 v2, vcc, v13, v9
	v_addc_co_u32_e32 v2, vcc, v14, v10, vcc
	v_addc_co_u32_e32 v6, vcc, 0, v12, vcc
	v_add_co_u32_e32 v2, vcc, v2, v11
	v_addc_co_u32_e32 v6, vcc, 0, v6, vcc
	v_mul_lo_u32 v11, s19, v2
	v_mul_lo_u32 v12, s18, v6
	v_mad_u64_u32 v[9:10], s[0:1], s18, v2, 0
	v_add3_u32 v10, v10, v12, v11
	v_sub_u32_e32 v11, v8, v10
	v_mov_b32_e32 v12, s19
	v_sub_co_u32_e32 v9, vcc, v7, v9
	v_subb_co_u32_e64 v11, s[0:1], v11, v12, vcc
	v_subrev_co_u32_e64 v12, s[0:1], s18, v9
	v_subbrev_co_u32_e64 v11, s[0:1], 0, v11, s[0:1]
	v_cmp_le_u32_e64 s[0:1], s19, v11
	v_cndmask_b32_e64 v13, 0, -1, s[0:1]
	v_cmp_le_u32_e64 s[0:1], s18, v12
	v_cndmask_b32_e64 v12, 0, -1, s[0:1]
	v_cmp_eq_u32_e64 s[0:1], s19, v11
	v_cndmask_b32_e64 v11, v13, v12, s[0:1]
	v_add_co_u32_e64 v12, s[0:1], 2, v2
	v_addc_co_u32_e64 v13, s[0:1], 0, v6, s[0:1]
	v_add_co_u32_e64 v14, s[0:1], 1, v2
	v_addc_co_u32_e64 v15, s[0:1], 0, v6, s[0:1]
	v_subb_co_u32_e32 v10, vcc, v8, v10, vcc
	v_cmp_ne_u32_e64 s[0:1], 0, v11
	v_cmp_le_u32_e32 vcc, s19, v10
	v_cndmask_b32_e64 v11, v15, v13, s[0:1]
	v_cndmask_b32_e64 v13, 0, -1, vcc
	v_cmp_le_u32_e32 vcc, s18, v9
	v_cndmask_b32_e64 v9, 0, -1, vcc
	v_cmp_eq_u32_e32 vcc, s19, v10
	v_cndmask_b32_e32 v9, v13, v9, vcc
	v_cmp_ne_u32_e32 vcc, 0, v9
	v_cndmask_b32_e32 v10, v6, v11, vcc
	v_cndmask_b32_e64 v6, v14, v12, s[0:1]
	v_cndmask_b32_e32 v9, v2, v6, vcc
.LBB0_4:                                ;   in Loop: Header=BB0_2 Depth=1
	s_andn2_saveexec_b64 s[0:1], s[20:21]
	s_cbranch_execz .LBB0_6
; %bb.5:                                ;   in Loop: Header=BB0_2 Depth=1
	v_cvt_f32_u32_e32 v2, s18
	s_sub_i32 s20, 0, s18
	v_rcp_iflag_f32_e32 v2, v2
	v_mul_f32_e32 v2, 0x4f7ffffe, v2
	v_cvt_u32_f32_e32 v2, v2
	v_mul_lo_u32 v6, s20, v2
	v_mul_hi_u32 v6, v2, v6
	v_add_u32_e32 v2, v2, v6
	v_mul_hi_u32 v2, v7, v2
	v_mul_lo_u32 v6, v2, s18
	v_add_u32_e32 v9, 1, v2
	v_sub_u32_e32 v6, v7, v6
	v_subrev_u32_e32 v10, s18, v6
	v_cmp_le_u32_e32 vcc, s18, v6
	v_cndmask_b32_e32 v6, v6, v10, vcc
	v_cndmask_b32_e32 v2, v2, v9, vcc
	v_add_u32_e32 v9, 1, v2
	v_cmp_le_u32_e32 vcc, s18, v6
	v_cndmask_b32_e32 v9, v2, v9, vcc
	v_mov_b32_e32 v10, v5
.LBB0_6:                                ;   in Loop: Header=BB0_2 Depth=1
	s_or_b64 exec, exec, s[0:1]
	v_mul_lo_u32 v2, v10, s18
	v_mul_lo_u32 v6, v9, s19
	v_mad_u64_u32 v[11:12], s[0:1], v9, s18, 0
	s_load_dwordx2 s[0:1], s[6:7], 0x0
	s_add_u32 s14, s14, 1
	v_add3_u32 v2, v12, v6, v2
	v_sub_co_u32_e32 v6, vcc, v7, v11
	v_subb_co_u32_e32 v2, vcc, v8, v2, vcc
	s_waitcnt lgkmcnt(0)
	v_mul_lo_u32 v2, s0, v2
	v_mul_lo_u32 v7, s1, v6
	v_mad_u64_u32 v[3:4], s[0:1], s0, v6, v[3:4]
	s_addc_u32 s15, s15, 0
	s_add_u32 s6, s6, 8
	v_add3_u32 v4, v7, v4, v2
	v_mov_b32_e32 v6, s10
	v_mov_b32_e32 v7, s11
	s_addc_u32 s7, s7, 0
	v_cmp_ge_u64_e32 vcc, s[14:15], v[6:7]
	s_add_u32 s16, s16, 8
	s_addc_u32 s17, s17, 0
	s_cbranch_vccnz .LBB0_8
; %bb.7:                                ;   in Loop: Header=BB0_2 Depth=1
	v_mov_b32_e32 v7, v9
	v_mov_b32_e32 v8, v10
	s_branch .LBB0_2
.LBB0_8:
	s_lshl_b64 s[0:1], s[10:11], 3
	s_add_u32 s0, s12, s0
	s_addc_u32 s1, s13, s1
	s_load_dwordx2 s[0:1], s[0:1], 0x0
	s_mov_b32 s6, 0xcccccccd
	v_mul_hi_u32 v5, v1, s6
	s_waitcnt lgkmcnt(0)
	v_mul_lo_u32 v6, s0, v10
	v_mul_lo_u32 v7, s1, v9
	v_mad_u64_u32 v[2:3], s[0:1], s0, v9, v[3:4]
	v_lshrrev_b32_e32 v4, 3, v5
	s_load_dwordx2 s[0:1], s[4:5], 0x20
	v_mul_lo_u32 v4, v4, 10
	s_mov_b32 s4, 0x15555556
	v_mul_hi_u32 v5, v0, s4
	v_add3_u32 v3, v7, v3, v6
	v_sub_u32_e32 v1, v1, v4
	v_mul_u32_u24_e32 v6, 0x91, v1
	s_waitcnt lgkmcnt(0)
	v_cmp_gt_u64_e32 vcc, s[0:1], v[9:10]
	v_mul_u32_u24_e32 v1, 12, v5
	v_lshlrev_b64 v[2:3], 3, v[2:3]
	v_sub_u32_e32 v0, v0, v1
	v_lshlrev_b32_e32 v10, 3, v6
	s_and_saveexec_b64 s[4:5], vcc
	s_cbranch_execz .LBB0_12
; %bb.9:
	v_mov_b32_e32 v1, 0
	v_mov_b32_e32 v5, s3
	v_add_co_u32_e64 v4, s[0:1], s2, v2
	v_lshlrev_b64 v[7:8], 3, v[0:1]
	v_addc_co_u32_e64 v5, s[0:1], v5, v3, s[0:1]
	v_add_co_u32_e64 v7, s[0:1], v4, v7
	v_addc_co_u32_e64 v8, s[0:1], v5, v8, s[0:1]
	global_load_dwordx2 v[11:12], v[7:8], off
	global_load_dwordx2 v[13:14], v[7:8], off offset:96
	global_load_dwordx2 v[15:16], v[7:8], off offset:192
	;; [unrolled: 1-line block ×11, first 2 shown]
	v_lshlrev_b32_e32 v1, 3, v0
	v_add3_u32 v1, 0, v10, v1
	v_cmp_eq_u32_e64 s[0:1], 11, v0
	s_waitcnt vmcnt(10)
	ds_write2_b64 v1, v[11:12], v[13:14] offset1:12
	s_waitcnt vmcnt(8)
	ds_write2_b64 v1, v[15:16], v[17:18] offset0:24 offset1:36
	s_waitcnt vmcnt(6)
	ds_write2_b64 v1, v[19:20], v[21:22] offset0:48 offset1:60
	;; [unrolled: 2-line block ×5, first 2 shown]
	s_and_saveexec_b64 s[6:7], s[0:1]
	s_cbranch_execz .LBB0_11
; %bb.10:
	global_load_dwordx2 v[4:5], v[4:5], off offset:1152
	v_mov_b32_e32 v0, 11
	s_waitcnt vmcnt(0)
	ds_write_b64 v1, v[4:5] offset:1064
.LBB0_11:
	s_or_b64 exec, exec, s[6:7]
.LBB0_12:
	s_or_b64 exec, exec, s[4:5]
	v_lshl_add_u32 v8, v6, 3, 0
	v_lshlrev_b32_e32 v12, 3, v0
	v_add_u32_e32 v9, v8, v12
	s_waitcnt lgkmcnt(0)
	s_barrier
	v_sub_u32_e32 v11, v8, v12
	ds_read_b32 v13, v9
	ds_read_b32 v14, v11 offset:1152
	v_cmp_ne_u32_e64 s[0:1], 0, v0
                                        ; implicit-def: $vgpr6_vgpr7
	s_waitcnt lgkmcnt(0)
	v_add_f32_e32 v4, v14, v13
	v_sub_f32_e32 v5, v13, v14
	s_and_saveexec_b64 s[4:5], s[0:1]
	s_xor_b64 s[4:5], exec, s[4:5]
	s_cbranch_execz .LBB0_14
; %bb.13:
	v_mov_b32_e32 v1, 0
	v_lshlrev_b64 v[4:5], 3, v[0:1]
	v_mov_b32_e32 v6, s9
	v_add_co_u32_e64 v4, s[0:1], s8, v4
	v_addc_co_u32_e64 v5, s[0:1], v6, v5, s[0:1]
	global_load_dwordx2 v[6:7], v[4:5], off offset:1104
	ds_read_b32 v4, v11 offset:1156
	ds_read_b32 v5, v9 offset:4
	v_add_f32_e32 v15, v14, v13
	v_sub_f32_e32 v16, v13, v14
	s_waitcnt lgkmcnt(0)
	v_add_f32_e32 v17, v4, v5
	v_sub_f32_e32 v4, v5, v4
	s_waitcnt vmcnt(0)
	v_fma_f32 v18, v16, v7, v15
	v_fma_f32 v5, v17, v7, v4
	v_fma_f32 v13, -v16, v7, v15
	v_fma_f32 v14, v17, v7, -v4
	v_fma_f32 v4, -v6, v17, v18
	v_fmac_f32_e32 v5, v16, v6
	v_fmac_f32_e32 v13, v6, v17
	;; [unrolled: 1-line block ×3, first 2 shown]
	v_mov_b32_e32 v7, v1
	ds_write_b64 v11, v[13:14] offset:1152
	v_mov_b32_e32 v6, v0
.LBB0_14:
	s_andn2_saveexec_b64 s[0:1], s[4:5]
	s_cbranch_execz .LBB0_16
; %bb.15:
	ds_read_b64 v[6:7], v8 offset:576
	s_waitcnt lgkmcnt(0)
	v_add_f32_e32 v13, v6, v6
	v_mul_f32_e32 v14, -2.0, v7
	v_mov_b32_e32 v6, 0
	v_mov_b32_e32 v7, 0
	ds_write_b64 v8, v[13:14] offset:576
.LBB0_16:
	s_or_b64 exec, exec, s[0:1]
	s_add_u32 s0, s8, 0x450
	v_lshlrev_b64 v[6:7], 3, v[6:7]
	s_addc_u32 s1, s9, 0
	v_mov_b32_e32 v1, s1
	v_add_co_u32_e64 v6, s[0:1], s0, v6
	v_addc_co_u32_e64 v7, s[0:1], v1, v7, s[0:1]
	global_load_dwordx2 v[13:14], v[6:7], off offset:96
	global_load_dwordx2 v[15:16], v[6:7], off offset:192
	;; [unrolled: 1-line block ×4, first 2 shown]
	ds_write_b64 v9, v[4:5]
	ds_read_b64 v[4:5], v9 offset:96
	ds_read_b64 v[21:22], v11 offset:1056
	global_load_dwordx2 v[6:7], v[6:7], off offset:480
	v_cmp_gt_u32_e64 s[0:1], 6, v0
	s_waitcnt lgkmcnt(0)
	v_add_f32_e32 v1, v4, v21
	v_add_f32_e32 v23, v22, v5
	v_sub_f32_e32 v24, v4, v21
	v_sub_f32_e32 v4, v5, v22
	s_waitcnt vmcnt(4)
	v_fma_f32 v25, v24, v14, v1
	v_fma_f32 v5, v23, v14, v4
	v_fma_f32 v21, -v24, v14, v1
	v_fma_f32 v22, v23, v14, -v4
	v_fma_f32 v4, -v13, v23, v25
	v_fmac_f32_e32 v5, v24, v13
	v_fmac_f32_e32 v21, v13, v23
	v_fmac_f32_e32 v22, v24, v13
	ds_write_b64 v9, v[4:5] offset:96
	ds_write_b64 v11, v[21:22] offset:1056
	ds_read_b64 v[4:5], v9 offset:192
	ds_read_b64 v[13:14], v11 offset:960
	s_waitcnt lgkmcnt(0)
	v_add_f32_e32 v1, v4, v13
	v_add_f32_e32 v21, v14, v5
	v_sub_f32_e32 v22, v4, v13
	v_sub_f32_e32 v4, v5, v14
	s_waitcnt vmcnt(3)
	v_fma_f32 v23, v22, v16, v1
	v_fma_f32 v5, v21, v16, v4
	v_fma_f32 v13, -v22, v16, v1
	v_fma_f32 v14, v21, v16, -v4
	v_fma_f32 v4, -v15, v21, v23
	v_fmac_f32_e32 v5, v22, v15
	v_fmac_f32_e32 v13, v15, v21
	v_fmac_f32_e32 v14, v22, v15
	ds_write_b64 v9, v[4:5] offset:192
	ds_write_b64 v11, v[13:14] offset:960
	ds_read_b64 v[4:5], v9 offset:288
	ds_read_b64 v[13:14], v11 offset:864
	s_waitcnt lgkmcnt(0)
	v_add_f32_e32 v1, v4, v13
	v_add_f32_e32 v15, v14, v5
	v_sub_f32_e32 v16, v4, v13
	v_sub_f32_e32 v4, v5, v14
	s_waitcnt vmcnt(2)
	v_fma_f32 v21, v16, v18, v1
	v_fma_f32 v5, v15, v18, v4
	v_fma_f32 v13, -v16, v18, v1
	v_fma_f32 v14, v15, v18, -v4
	v_fma_f32 v4, -v17, v15, v21
	v_fmac_f32_e32 v5, v16, v17
	v_fmac_f32_e32 v13, v17, v15
	v_fmac_f32_e32 v14, v16, v17
	ds_write_b64 v9, v[4:5] offset:288
	ds_write_b64 v11, v[13:14] offset:864
	ds_read_b64 v[4:5], v9 offset:384
	ds_read_b64 v[13:14], v11 offset:768
	s_waitcnt lgkmcnt(0)
	v_add_f32_e32 v1, v4, v13
	v_add_f32_e32 v15, v14, v5
	v_sub_f32_e32 v16, v4, v13
	v_sub_f32_e32 v4, v5, v14
	s_waitcnt vmcnt(1)
	v_fma_f32 v17, v16, v20, v1
	v_fma_f32 v5, v15, v20, v4
	v_fma_f32 v13, -v16, v20, v1
	v_fma_f32 v14, v15, v20, -v4
	v_fma_f32 v4, -v19, v15, v17
	v_fmac_f32_e32 v5, v16, v19
	v_fmac_f32_e32 v13, v19, v15
	v_fmac_f32_e32 v14, v16, v19
	ds_write_b64 v9, v[4:5] offset:384
	ds_write_b64 v11, v[13:14] offset:768
	ds_read_b64 v[4:5], v9 offset:480
	ds_read_b64 v[13:14], v11 offset:672
	v_add3_u32 v1, 0, v12, v10
	v_mad_u32_u24 v41, v0, 40, v1
	s_waitcnt lgkmcnt(0)
	v_add_f32_e32 v12, v4, v13
	v_add_f32_e32 v15, v14, v5
	v_sub_f32_e32 v16, v4, v13
	v_sub_f32_e32 v4, v5, v14
	s_waitcnt vmcnt(0)
	v_fma_f32 v14, v16, v7, v12
	v_fma_f32 v5, v15, v7, v4
	v_fma_f32 v12, -v16, v7, v12
	v_fma_f32 v13, v15, v7, -v4
	v_fma_f32 v4, -v6, v15, v14
	v_fmac_f32_e32 v5, v16, v6
	v_fmac_f32_e32 v12, v6, v15
	v_fmac_f32_e32 v13, v16, v6
	ds_write_b64 v9, v[4:5] offset:480
	ds_write_b64 v11, v[12:13] offset:672
	s_waitcnt lgkmcnt(0)
	s_barrier
	s_barrier
	ds_read2_b64 v[4:7], v1 offset0:12 offset1:24
	ds_read2_b64 v[11:14], v1 offset0:60 offset1:72
	;; [unrolled: 1-line block ×5, first 2 shown]
	ds_read_b64 v[27:28], v9
	ds_read_b64 v[29:30], v1 offset:1056
	s_waitcnt lgkmcnt(4)
	v_sub_f32_e32 v33, v14, v18
	v_add_f32_e32 v34, v7, v14
	v_add_f32_e32 v14, v14, v18
	;; [unrolled: 1-line block ×5, first 2 shown]
	v_fma_f32 v14, -0.5, v14, v7
	v_sub_f32_e32 v13, v13, v17
	v_add_f32_e32 v36, v11, v15
	v_sub_f32_e32 v40, v11, v15
	v_add_f32_e32 v17, v31, v17
	v_add_f32_e32 v31, v35, v15
	v_fma_f32 v15, -0.5, v32, v6
	v_mov_b32_e32 v7, v14
	v_mov_b32_e32 v6, v15
	v_fmac_f32_e32 v7, 0x3f5db3d7, v13
	v_fmac_f32_e32 v6, 0xbf5db3d7, v33
	v_mul_f32_e32 v32, 0xbf5db3d7, v7
	v_mul_f32_e32 v35, 0.5, v7
	v_add_f32_e32 v38, v5, v12
	v_fmac_f32_e32 v32, 0.5, v6
	v_fmac_f32_e32 v35, 0x3f5db3d7, v6
	s_waitcnt lgkmcnt(1)
	v_add_f32_e32 v6, v27, v21
	v_sub_f32_e32 v37, v12, v16
	v_add_f32_e32 v39, v12, v16
	v_add_f32_e32 v12, v22, v26
	;; [unrolled: 1-line block ×7, first 2 shown]
	v_fmac_f32_e32 v28, -0.5, v12
	v_fma_f32 v27, -0.5, v6, v27
	v_sub_f32_e32 v16, v22, v26
	v_mov_b32_e32 v22, v27
	v_sub_f32_e32 v21, v21, v25
	v_mov_b32_e32 v25, v28
	v_fmac_f32_e32 v22, 0xbf5db3d7, v16
	v_add_f32_e32 v26, v11, v26
	v_fmac_f32_e32 v25, 0x3f5db3d7, v21
	v_add_f32_e32 v6, v38, v17
	v_add_f32_e32 v7, v26, v18
	v_add_f32_e32 v11, v22, v32
	v_add_f32_e32 v12, v25, v35
	s_waitcnt lgkmcnt(0)
	s_barrier
	ds_write2_b64 v41, v[6:7], v[11:12] offset1:1
	v_add_f32_e32 v12, v24, v30
	v_add_f32_e32 v7, v19, v23
	;; [unrolled: 1-line block ×4, first 2 shown]
	v_sub_f32_e32 v23, v23, v29
	v_fmac_f32_e32 v20, -0.5, v12
	v_sub_f32_e32 v11, v24, v30
	v_fma_f32 v24, -0.5, v6, v19
	v_mov_b32_e32 v43, v20
	v_fmac_f32_e32 v20, 0xbf5db3d7, v23
	v_mul_f32_e32 v12, -0.5, v20
	v_fmac_f32_e32 v5, -0.5, v39
	v_mov_b32_e32 v39, v24
	v_fmac_f32_e32 v24, 0x3f5db3d7, v11
	v_fma_f32 v4, -0.5, v36, v4
	v_mov_b32_e32 v36, v5
	v_fmac_f32_e32 v5, 0xbf5db3d7, v40
	v_fmac_f32_e32 v12, 0x3f5db3d7, v24
	;; [unrolled: 1-line block ×3, first 2 shown]
	v_add_f32_e32 v6, v5, v12
	v_sub_f32_e32 v12, v5, v12
	v_fmac_f32_e32 v15, 0x3f5db3d7, v33
	v_mul_f32_e32 v5, 0xbf5db3d7, v14
	v_mul_f32_e32 v13, -0.5, v14
	v_mul_f32_e32 v44, 0xbf5db3d7, v20
	v_fmac_f32_e32 v27, 0x3f5db3d7, v16
	v_fmac_f32_e32 v28, 0xbf5db3d7, v21
	v_fmac_f32_e32 v5, -0.5, v15
	v_fmac_f32_e32 v13, 0x3f5db3d7, v15
	v_add_f32_e32 v14, v28, v13
	v_sub_f32_e32 v16, v28, v13
	v_add_f32_e32 v13, v27, v5
	v_sub_f32_e32 v15, v27, v5
	v_mov_b32_e32 v27, v4
	v_fmac_f32_e32 v4, 0x3f5db3d7, v37
	v_fmac_f32_e32 v43, 0x3f5db3d7, v23
	v_fmac_f32_e32 v44, -0.5, v24
	v_add_f32_e32 v7, v7, v29
	v_fmac_f32_e32 v39, 0xbf5db3d7, v11
	v_mul_f32_e32 v28, 0xbf5db3d7, v43
	v_mul_f32_e32 v29, 0.5, v43
	v_add_f32_e32 v5, v4, v44
	v_sub_f32_e32 v11, v4, v44
	v_add_u32_e32 v4, -6, v0
	v_sub_f32_e32 v17, v38, v17
	v_sub_f32_e32 v18, v26, v18
	;; [unrolled: 1-line block ×3, first 2 shown]
	v_add_f32_e32 v25, v42, v30
	v_fmac_f32_e32 v27, 0xbf5db3d7, v37
	v_fmac_f32_e32 v36, 0x3f5db3d7, v40
	v_fmac_f32_e32 v28, 0.5, v39
	v_fmac_f32_e32 v29, 0x3f5db3d7, v39
	v_cndmask_b32_e64 v35, v4, v0, s[0:1]
	v_sub_f32_e32 v19, v22, v32
	v_add_f32_e32 v21, v31, v7
	v_add_f32_e32 v22, v34, v25
	v_sub_f32_e32 v23, v31, v7
	v_sub_f32_e32 v24, v34, v25
	v_add_f32_e32 v25, v27, v28
	v_add_f32_e32 v26, v36, v29
	v_sub_f32_e32 v27, v27, v28
	v_sub_f32_e32 v28, v36, v29
	ds_write2_b64 v41, v[13:14], v[17:18] offset0:2 offset1:3
	ds_write2_b64 v41, v[19:20], v[15:16] offset0:4 offset1:5
	;; [unrolled: 1-line block ×5, first 2 shown]
	v_mul_i32_i24_e32 v4, 5, v35
	v_mov_b32_e32 v5, 0
	v_lshlrev_b64 v[6:7], 3, v[4:5]
	v_mov_b32_e32 v4, s9
	v_add_co_u32_e64 v6, s[0:1], s8, v6
	v_addc_co_u32_e64 v7, s[0:1], v4, v7, s[0:1]
	s_waitcnt lgkmcnt(0)
	s_barrier
	global_load_dwordx2 v[31:32], v[6:7], off offset:32
	v_add_u16_e32 v4, 12, v0
	s_movk_i32 s0, 0xab
	v_mul_lo_u16_sdwa v11, v4, s0 dst_sel:DWORD dst_unused:UNUSED_PAD src0_sel:BYTE_0 src1_sel:DWORD
	v_lshrrev_b16_e32 v36, 10, v11
	v_mul_lo_u16_e32 v11, 6, v36
	v_sub_u16_e32 v37, v4, v11
	v_mov_b32_e32 v4, 5
	v_mul_u32_u24_sdwa v4, v37, v4 dst_sel:DWORD dst_unused:UNUSED_PAD src0_sel:BYTE_0 src1_sel:DWORD
	v_lshlrev_b32_e32 v4, 3, v4
	global_load_dwordx4 v[11:14], v4, s[8:9] offset:16
	global_load_dwordx4 v[15:18], v[6:7], off offset:16
	global_load_dwordx4 v[19:22], v4, s[8:9]
	global_load_dwordx4 v[23:26], v[6:7], off
	global_load_dwordx2 v[33:34], v4, s[8:9] offset:32
	ds_read2_b64 v[27:30], v1 offset0:108 offset1:120
	s_movk_i32 s0, 0xffd8
	s_waitcnt vmcnt(5) lgkmcnt(0)
	v_mul_f32_e32 v38, v30, v32
	v_mul_f32_e32 v4, v29, v32
	v_fmac_f32_e32 v38, v29, v31
	v_fma_f32 v39, v30, v31, -v4
	ds_read2_b64 v[29:32], v1 offset0:84 offset1:96
	s_waitcnt vmcnt(4)
	v_mul_f32_e32 v40, v28, v14
	v_mul_f32_e32 v4, v27, v14
	v_fmac_f32_e32 v40, v27, v13
	v_fma_f32 v27, v28, v13, -v4
	s_waitcnt lgkmcnt(0)
	v_mul_f32_e32 v28, v30, v12
	v_mul_f32_e32 v4, v29, v12
	v_fmac_f32_e32 v28, v29, v11
	v_fma_f32 v29, v30, v11, -v4
	ds_read2_b64 v[11:14], v1 offset0:60 offset1:72
	s_waitcnt vmcnt(3)
	v_mul_f32_e32 v30, v18, v32
	v_mul_f32_e32 v4, v18, v31
	v_fmac_f32_e32 v30, v17, v31
	v_fma_f32 v17, v17, v32, -v4
	s_waitcnt lgkmcnt(0)
	v_mul_f32_e32 v18, v16, v14
	v_mul_f32_e32 v4, v16, v13
	v_fmac_f32_e32 v18, v15, v13
	v_fma_f32 v31, v15, v14, -v4
	ds_read2_b64 v[13:16], v1 offset0:36 offset1:48
	s_waitcnt vmcnt(2)
	v_mul_f32_e32 v32, v12, v22
	v_mul_f32_e32 v4, v11, v22
	v_fmac_f32_e32 v32, v11, v21
	v_fma_f32 v21, v12, v21, -v4
	s_waitcnt lgkmcnt(0)
	v_mul_f32_e32 v22, v14, v20
	v_mul_f32_e32 v4, v13, v20
	v_fmac_f32_e32 v22, v13, v19
	v_fma_f32 v19, v14, v19, -v4
	v_mad_i32_i24 v4, v0, s0, v41
	ds_read2_b64 v[11:14], v4 offset0:12 offset1:24
	s_waitcnt vmcnt(1)
	v_mul_f32_e32 v20, v26, v16
	v_mul_f32_e32 v6, v26, v15
	v_fmac_f32_e32 v20, v25, v15
	v_fma_f32 v15, v25, v16, -v6
	s_waitcnt lgkmcnt(0)
	v_mul_f32_e32 v25, v24, v14
	ds_read_b64 v[6:7], v1 offset:1056
	v_fmac_f32_e32 v25, v23, v13
	v_mul_f32_e32 v13, v24, v13
	v_fma_f32 v23, v23, v14, -v13
	ds_read_b64 v[13:14], v9
	s_waitcnt vmcnt(0) lgkmcnt(1)
	v_mul_f32_e32 v24, v7, v34
	v_fmac_f32_e32 v24, v6, v33
	v_mul_f32_e32 v6, v6, v34
	v_fma_f32 v26, v7, v33, -v6
	s_waitcnt lgkmcnt(0)
	v_add_f32_e32 v6, v14, v15
	v_add_f32_e32 v33, v6, v17
	v_sub_f32_e32 v34, v15, v17
	v_add_f32_e32 v6, v15, v17
	v_add_f32_e32 v15, v18, v38
	v_fmac_f32_e32 v14, -0.5, v6
	v_add_f32_e32 v6, v13, v20
	v_add_f32_e32 v7, v25, v18
	v_fmac_f32_e32 v25, -0.5, v15
	v_add_f32_e32 v15, v23, v31
	v_add_f32_e32 v17, v6, v30
	v_add_f32_e32 v6, v20, v30
	v_sub_f32_e32 v20, v20, v30
	v_add_f32_e32 v30, v15, v39
	v_add_f32_e32 v15, v31, v39
	v_fmac_f32_e32 v23, -0.5, v15
	v_sub_f32_e32 v18, v18, v38
	v_mov_b32_e32 v15, v23
	v_sub_f32_e32 v41, v31, v39
	v_add_f32_e32 v31, v7, v38
	v_mov_b32_e32 v7, v25
	v_fmac_f32_e32 v15, 0x3f5db3d7, v18
	v_fmac_f32_e32 v7, 0xbf5db3d7, v41
	v_mul_f32_e32 v38, 0xbf5db3d7, v15
	v_mul_f32_e32 v39, 0.5, v15
	v_fmac_f32_e32 v38, 0.5, v7
	v_fmac_f32_e32 v39, 0x3f5db3d7, v7
	v_mov_b32_e32 v7, 0x120
	v_cmp_lt_u32_e64 s[0:1], 5, v0
	v_fma_f32 v13, -0.5, v6, v13
	v_cndmask_b32_e64 v7, 0, v7, s[0:1]
	v_mov_b32_e32 v42, v13
	v_mov_b32_e32 v43, v14
	v_add_u32_e32 v7, 0, v7
	v_lshlrev_b32_e32 v15, 3, v35
	v_fmac_f32_e32 v42, 0xbf5db3d7, v34
	v_fmac_f32_e32 v43, 0x3f5db3d7, v20
	v_add3_u32 v35, v7, v15, v10
	v_add_f32_e32 v6, v17, v31
	v_add_f32_e32 v7, v33, v30
	;; [unrolled: 1-line block ×4, first 2 shown]
	v_fmac_f32_e32 v23, 0xbf5db3d7, v18
	s_barrier
	ds_write2_b64 v35, v[6:7], v[15:16] offset1:6
	v_sub_f32_e32 v6, v17, v31
	v_fmac_f32_e32 v25, 0x3f5db3d7, v41
	v_mul_f32_e32 v17, 0xbf5db3d7, v23
	v_mul_f32_e32 v18, -0.5, v23
	v_fmac_f32_e32 v13, 0x3f5db3d7, v34
	v_fmac_f32_e32 v14, 0xbf5db3d7, v20
	v_fmac_f32_e32 v17, -0.5, v25
	v_fmac_f32_e32 v18, 0x3f5db3d7, v25
	v_sub_f32_e32 v7, v33, v30
	v_add_f32_e32 v15, v13, v17
	v_add_f32_e32 v16, v14, v18
	ds_write2_b64 v35, v[15:16], v[6:7] offset0:12 offset1:18
	v_add_f32_e32 v6, v21, v27
	v_add_f32_e32 v20, v12, v21
	v_fmac_f32_e32 v12, -0.5, v6
	v_add_f32_e32 v6, v28, v24
	v_add_f32_e32 v23, v22, v28
	v_fmac_f32_e32 v22, -0.5, v6
	v_add_f32_e32 v6, v29, v26
	v_add_f32_e32 v25, v19, v29
	v_fmac_f32_e32 v19, -0.5, v6
	v_sub_f32_e32 v28, v28, v24
	v_add_f32_e32 v6, v32, v40
	v_sub_f32_e32 v29, v29, v26
	v_mov_b32_e32 v41, v19
	v_fmac_f32_e32 v19, 0xbf5db3d7, v28
	v_fma_f32 v30, -0.5, v6, v11
	v_add_f32_e32 v31, v11, v32
	v_mov_b32_e32 v34, v22
	v_fmac_f32_e32 v22, 0x3f5db3d7, v29
	v_mul_f32_e32 v6, -0.5, v19
	v_mul_f32_e32 v11, 0xbf5db3d7, v19
	v_fmac_f32_e32 v6, 0x3f5db3d7, v22
	v_sub_f32_e32 v14, v14, v18
	v_sub_f32_e32 v13, v13, v17
	;; [unrolled: 1-line block ×4, first 2 shown]
	v_fmac_f32_e32 v11, -0.5, v22
	v_add_f32_e32 v20, v20, v27
	v_add_f32_e32 v22, v23, v24
	;; [unrolled: 1-line block ×3, first 2 shown]
	v_fmac_f32_e32 v41, 0x3f5db3d7, v28
	v_sub_f32_e32 v32, v32, v40
	v_mov_b32_e32 v33, v12
	v_sub_f32_e32 v21, v21, v27
	v_mov_b32_e32 v38, v30
	v_add_f32_e32 v18, v20, v23
	v_sub_f32_e32 v20, v20, v23
	v_fmac_f32_e32 v34, 0xbf5db3d7, v29
	v_mul_f32_e32 v23, 0xbf5db3d7, v41
	v_mul_f32_e32 v24, 0.5, v41
	s_movk_i32 s0, 0x120
	ds_write2_b64 v35, v[15:16], v[13:14] offset0:24 offset1:30
	v_mov_b32_e32 v14, 3
	v_fmac_f32_e32 v12, 0xbf5db3d7, v32
	v_fmac_f32_e32 v30, 0x3f5db3d7, v21
	v_add_f32_e32 v19, v31, v40
	v_fmac_f32_e32 v38, 0xbf5db3d7, v21
	v_fmac_f32_e32 v33, 0x3f5db3d7, v32
	v_fmac_f32_e32 v23, 0.5, v34
	v_fmac_f32_e32 v24, 0x3f5db3d7, v34
	v_mad_u32_u24 v13, v36, s0, 0
	v_lshlrev_b32_sdwa v14, v14, v37 dst_sel:DWORD dst_unused:UNUSED_PAD src0_sel:DWORD src1_sel:BYTE_0
	v_add_f32_e32 v7, v12, v6
	v_sub_f32_e32 v12, v12, v6
	v_add_f32_e32 v6, v30, v11
	v_add_f32_e32 v17, v19, v22
	v_sub_f32_e32 v19, v19, v22
	v_add_f32_e32 v21, v38, v23
	v_add_f32_e32 v22, v33, v24
	v_add3_u32 v10, v13, v14, v10
	v_sub_f32_e32 v11, v30, v11
	v_sub_f32_e32 v23, v38, v23
	;; [unrolled: 1-line block ×3, first 2 shown]
	ds_write2_b64 v10, v[17:18], v[21:22] offset1:6
	ds_write2_b64 v10, v[6:7], v[19:20] offset0:12 offset1:18
	ds_write2_b64 v10, v[23:24], v[11:12] offset0:24 offset1:30
	v_mul_u32_u24_e32 v6, 3, v0
	v_lshlrev_b32_e32 v22, 3, v6
	s_waitcnt lgkmcnt(0)
	s_barrier
	global_load_dwordx4 v[10:13], v22, s[8:9] offset:240
	global_load_dwordx4 v[14:17], v22, s[8:9] offset:528
	;; [unrolled: 1-line block ×3, first 2 shown]
	global_load_dwordx2 v[6:7], v22, s[8:9] offset:256
	global_load_dwordx2 v[30:31], v22, s[8:9] offset:544
	;; [unrolled: 1-line block ×3, first 2 shown]
	ds_read2_b64 v[22:25], v1 offset0:36 offset1:48
	ds_read2_b64 v[26:29], v1 offset0:60 offset1:72
	s_waitcnt vmcnt(5) lgkmcnt(1)
	v_mul_f32_e32 v34, v11, v23
	v_mul_f32_e32 v11, v11, v22
	v_fmac_f32_e32 v34, v10, v22
	v_fma_f32 v22, v10, v23, -v11
	s_waitcnt lgkmcnt(0)
	v_mul_f32_e32 v23, v13, v29
	v_mul_f32_e32 v10, v13, v28
	v_fmac_f32_e32 v23, v12, v28
	v_fma_f32 v28, v12, v29, -v10
	ds_read2_b64 v[10:13], v1 offset0:84 offset1:96
	s_waitcnt vmcnt(4)
	v_mul_f32_e32 v29, v15, v25
	v_mul_f32_e32 v15, v15, v24
	v_fmac_f32_e32 v29, v14, v24
	v_fma_f32 v24, v14, v25, -v15
	s_waitcnt lgkmcnt(0)
	v_mul_f32_e32 v25, v17, v11
	v_fmac_f32_e32 v25, v16, v10
	v_mul_f32_e32 v10, v17, v10
	v_fma_f32 v35, v16, v11, -v10
	ds_read2_b64 v[14:17], v1 offset0:108 offset1:120
	s_waitcnt vmcnt(3)
	v_mul_f32_e32 v36, v27, v19
	v_mul_f32_e32 v10, v26, v19
	v_fmac_f32_e32 v36, v26, v18
	v_fma_f32 v19, v27, v18, -v10
	v_mul_f32_e32 v26, v13, v21
	v_mul_f32_e32 v10, v12, v21
	s_waitcnt vmcnt(2) lgkmcnt(0)
	v_mul_f32_e32 v11, v7, v15
	v_mul_f32_e32 v7, v7, v14
	v_fmac_f32_e32 v26, v12, v20
	v_fma_f32 v20, v13, v20, -v10
	v_fmac_f32_e32 v11, v6, v14
	v_fma_f32 v12, v6, v15, -v7
	ds_read_b64 v[6:7], v1 offset:1056
	s_waitcnt vmcnt(1)
	v_mul_f32_e32 v10, v16, v31
	v_fma_f32 v27, v17, v30, -v10
	ds_read_b64 v[9:10], v9
	v_mul_f32_e32 v21, v17, v31
	v_fmac_f32_e32 v21, v16, v30
	s_waitcnt vmcnt(0) lgkmcnt(1)
	v_mul_f32_e32 v30, v7, v33
	v_fmac_f32_e32 v30, v6, v32
	v_mul_f32_e32 v6, v6, v33
	s_waitcnt lgkmcnt(0)
	v_sub_f32_e32 v17, v9, v23
	v_sub_f32_e32 v18, v10, v28
	v_sub_f32_e32 v11, v34, v11
	v_sub_f32_e32 v12, v22, v12
	v_fma_f32 v31, v7, v32, -v6
	v_fma_f32 v9, v9, 2.0, -v17
	v_fma_f32 v10, v10, 2.0, -v18
	;; [unrolled: 1-line block ×4, first 2 shown]
	v_sub_f32_e32 v6, v9, v6
	v_sub_f32_e32 v7, v10, v7
	v_fma_f32 v13, v9, 2.0, -v6
	v_fma_f32 v14, v10, 2.0, -v7
	v_add_f32_e32 v15, v17, v12
	v_sub_f32_e32 v16, v18, v11
	ds_read2_b64 v[9:12], v4 offset0:12 offset1:24
	v_fma_f32 v17, v17, 2.0, -v15
	v_fma_f32 v18, v18, 2.0, -v16
	s_waitcnt lgkmcnt(0)
	s_barrier
	ds_write2_b64 v1, v[13:14], v[17:18] offset1:36
	v_sub_f32_e32 v18, v12, v20
	v_sub_f32_e32 v20, v29, v21
	;; [unrolled: 1-line block ×6, first 2 shown]
	v_fma_f32 v23, v24, 2.0, -v21
	v_sub_f32_e32 v24, v36, v30
	v_sub_f32_e32 v25, v19, v31
	v_fma_f32 v9, v9, 2.0, -v13
	v_fma_f32 v10, v10, 2.0, -v14
	;; [unrolled: 1-line block ×7, first 2 shown]
	v_sub_f32_e32 v22, v9, v22
	v_sub_f32_e32 v23, v10, v23
	v_add_f32_e32 v21, v13, v21
	v_sub_f32_e32 v20, v14, v20
	v_sub_f32_e32 v26, v11, v26
	;; [unrolled: 1-line block ×3, first 2 shown]
	v_add_f32_e32 v25, v17, v25
	v_sub_f32_e32 v24, v18, v24
	v_fma_f32 v9, v9, 2.0, -v22
	v_fma_f32 v10, v10, 2.0, -v23
	v_fma_f32 v13, v13, 2.0, -v21
	v_fma_f32 v14, v14, 2.0, -v20
	v_fma_f32 v11, v11, 2.0, -v26
	v_fma_f32 v12, v12, 2.0, -v19
	v_fma_f32 v17, v17, 2.0, -v25
	v_fma_f32 v18, v18, 2.0, -v24
	ds_write2_b64 v1, v[6:7], v[15:16] offset0:72 offset1:108
	ds_write2_b32 v4, v13, v14 offset0:96 offset1:97
	ds_write2_b32 v4, v22, v23 offset0:168 offset1:169
	ds_write2_b32 v4, v21, v20 offset0:240 offset1:241
	ds_write2_b64 v4, v[9:10], v[11:12] offset0:12 offset1:24
	ds_write2_b32 v4, v17, v18 offset0:120 offset1:121
	ds_write2_b32 v4, v26, v19 offset0:192 offset1:193
	v_add_u32_e32 v1, 0x400, v4
	ds_write2_b32 v1, v25, v24 offset0:8 offset1:9
	s_waitcnt lgkmcnt(0)
	s_barrier
	s_and_saveexec_b64 s[0:1], vcc
	s_cbranch_execz .LBB0_18
; %bb.17:
	v_lshl_add_u32 v10, v0, 3, v8
	v_mov_b32_e32 v1, v5
	ds_read2_b64 v[6:9], v10 offset1:12
	v_mov_b32_e32 v4, s3
	v_add_co_u32_e32 v11, vcc, s2, v2
	v_lshlrev_b64 v[1:2], 3, v[0:1]
	v_addc_co_u32_e32 v3, vcc, v4, v3, vcc
	v_add_co_u32_e32 v1, vcc, v11, v1
	v_addc_co_u32_e32 v2, vcc, v3, v2, vcc
	v_add_u32_e32 v4, 12, v0
	s_waitcnt lgkmcnt(0)
	global_store_dwordx2 v[1:2], v[6:7], off
	v_lshlrev_b64 v[1:2], 3, v[4:5]
	v_add_u32_e32 v4, 24, v0
	v_add_co_u32_e32 v1, vcc, v11, v1
	v_addc_co_u32_e32 v2, vcc, v3, v2, vcc
	global_store_dwordx2 v[1:2], v[8:9], off
	ds_read2_b64 v[6:9], v10 offset0:24 offset1:36
	v_lshlrev_b64 v[1:2], 3, v[4:5]
	v_add_u32_e32 v4, 36, v0
	v_add_co_u32_e32 v1, vcc, v11, v1
	v_addc_co_u32_e32 v2, vcc, v3, v2, vcc
	s_waitcnt lgkmcnt(0)
	global_store_dwordx2 v[1:2], v[6:7], off
	v_lshlrev_b64 v[1:2], 3, v[4:5]
	v_add_u32_e32 v4, 48, v0
	v_add_co_u32_e32 v1, vcc, v11, v1
	v_addc_co_u32_e32 v2, vcc, v3, v2, vcc
	global_store_dwordx2 v[1:2], v[8:9], off
	ds_read2_b64 v[6:9], v10 offset0:48 offset1:60
	v_lshlrev_b64 v[1:2], 3, v[4:5]
	v_add_u32_e32 v4, 60, v0
	v_add_co_u32_e32 v1, vcc, v11, v1
	v_addc_co_u32_e32 v2, vcc, v3, v2, vcc
	;; [unrolled: 12-line block ×5, first 2 shown]
	s_waitcnt lgkmcnt(0)
	global_store_dwordx2 v[1:2], v[6:7], off
	v_lshlrev_b64 v[0:1], 3, v[4:5]
	v_add_co_u32_e32 v0, vcc, v11, v0
	v_addc_co_u32_e32 v1, vcc, v3, v1, vcc
	global_store_dwordx2 v[0:1], v[8:9], off
.LBB0_18:
	s_endpgm
	.section	.rodata,"a",@progbits
	.p2align	6, 0x0
	.amdhsa_kernel fft_rtc_back_len144_factors_6_6_4_wgs_120_tpt_12_halfLds_sp_ip_CI_unitstride_sbrr_C2R_dirReg
		.amdhsa_group_segment_fixed_size 0
		.amdhsa_private_segment_fixed_size 0
		.amdhsa_kernarg_size 88
		.amdhsa_user_sgpr_count 6
		.amdhsa_user_sgpr_private_segment_buffer 1
		.amdhsa_user_sgpr_dispatch_ptr 0
		.amdhsa_user_sgpr_queue_ptr 0
		.amdhsa_user_sgpr_kernarg_segment_ptr 1
		.amdhsa_user_sgpr_dispatch_id 0
		.amdhsa_user_sgpr_flat_scratch_init 0
		.amdhsa_user_sgpr_private_segment_size 0
		.amdhsa_uses_dynamic_stack 0
		.amdhsa_system_sgpr_private_segment_wavefront_offset 0
		.amdhsa_system_sgpr_workgroup_id_x 1
		.amdhsa_system_sgpr_workgroup_id_y 0
		.amdhsa_system_sgpr_workgroup_id_z 0
		.amdhsa_system_sgpr_workgroup_info 0
		.amdhsa_system_vgpr_workitem_id 0
		.amdhsa_next_free_vgpr 45
		.amdhsa_next_free_sgpr 22
		.amdhsa_reserve_vcc 1
		.amdhsa_reserve_flat_scratch 0
		.amdhsa_float_round_mode_32 0
		.amdhsa_float_round_mode_16_64 0
		.amdhsa_float_denorm_mode_32 3
		.amdhsa_float_denorm_mode_16_64 3
		.amdhsa_dx10_clamp 1
		.amdhsa_ieee_mode 1
		.amdhsa_fp16_overflow 0
		.amdhsa_exception_fp_ieee_invalid_op 0
		.amdhsa_exception_fp_denorm_src 0
		.amdhsa_exception_fp_ieee_div_zero 0
		.amdhsa_exception_fp_ieee_overflow 0
		.amdhsa_exception_fp_ieee_underflow 0
		.amdhsa_exception_fp_ieee_inexact 0
		.amdhsa_exception_int_div_zero 0
	.end_amdhsa_kernel
	.text
.Lfunc_end0:
	.size	fft_rtc_back_len144_factors_6_6_4_wgs_120_tpt_12_halfLds_sp_ip_CI_unitstride_sbrr_C2R_dirReg, .Lfunc_end0-fft_rtc_back_len144_factors_6_6_4_wgs_120_tpt_12_halfLds_sp_ip_CI_unitstride_sbrr_C2R_dirReg
                                        ; -- End function
	.section	.AMDGPU.csdata,"",@progbits
; Kernel info:
; codeLenInByte = 5332
; NumSgprs: 26
; NumVgprs: 45
; ScratchSize: 0
; MemoryBound: 0
; FloatMode: 240
; IeeeMode: 1
; LDSByteSize: 0 bytes/workgroup (compile time only)
; SGPRBlocks: 3
; VGPRBlocks: 11
; NumSGPRsForWavesPerEU: 26
; NumVGPRsForWavesPerEU: 45
; Occupancy: 5
; WaveLimiterHint : 1
; COMPUTE_PGM_RSRC2:SCRATCH_EN: 0
; COMPUTE_PGM_RSRC2:USER_SGPR: 6
; COMPUTE_PGM_RSRC2:TRAP_HANDLER: 0
; COMPUTE_PGM_RSRC2:TGID_X_EN: 1
; COMPUTE_PGM_RSRC2:TGID_Y_EN: 0
; COMPUTE_PGM_RSRC2:TGID_Z_EN: 0
; COMPUTE_PGM_RSRC2:TIDIG_COMP_CNT: 0
	.type	__hip_cuid_ea80f894e50d5028,@object ; @__hip_cuid_ea80f894e50d5028
	.section	.bss,"aw",@nobits
	.globl	__hip_cuid_ea80f894e50d5028
__hip_cuid_ea80f894e50d5028:
	.byte	0                               ; 0x0
	.size	__hip_cuid_ea80f894e50d5028, 1

	.ident	"AMD clang version 19.0.0git (https://github.com/RadeonOpenCompute/llvm-project roc-6.4.0 25133 c7fe45cf4b819c5991fe208aaa96edf142730f1d)"
	.section	".note.GNU-stack","",@progbits
	.addrsig
	.addrsig_sym __hip_cuid_ea80f894e50d5028
	.amdgpu_metadata
---
amdhsa.kernels:
  - .args:
      - .actual_access:  read_only
        .address_space:  global
        .offset:         0
        .size:           8
        .value_kind:     global_buffer
      - .offset:         8
        .size:           8
        .value_kind:     by_value
      - .actual_access:  read_only
        .address_space:  global
        .offset:         16
        .size:           8
        .value_kind:     global_buffer
      - .actual_access:  read_only
        .address_space:  global
        .offset:         24
        .size:           8
        .value_kind:     global_buffer
      - .offset:         32
        .size:           8
        .value_kind:     by_value
      - .actual_access:  read_only
        .address_space:  global
        .offset:         40
        .size:           8
        .value_kind:     global_buffer
      - .actual_access:  read_only
        .address_space:  global
        .offset:         48
        .size:           8
        .value_kind:     global_buffer
      - .offset:         56
        .size:           4
        .value_kind:     by_value
      - .actual_access:  read_only
        .address_space:  global
        .offset:         64
        .size:           8
        .value_kind:     global_buffer
      - .actual_access:  read_only
        .address_space:  global
        .offset:         72
        .size:           8
        .value_kind:     global_buffer
      - .address_space:  global
        .offset:         80
        .size:           8
        .value_kind:     global_buffer
    .group_segment_fixed_size: 0
    .kernarg_segment_align: 8
    .kernarg_segment_size: 88
    .language:       OpenCL C
    .language_version:
      - 2
      - 0
    .max_flat_workgroup_size: 120
    .name:           fft_rtc_back_len144_factors_6_6_4_wgs_120_tpt_12_halfLds_sp_ip_CI_unitstride_sbrr_C2R_dirReg
    .private_segment_fixed_size: 0
    .sgpr_count:     26
    .sgpr_spill_count: 0
    .symbol:         fft_rtc_back_len144_factors_6_6_4_wgs_120_tpt_12_halfLds_sp_ip_CI_unitstride_sbrr_C2R_dirReg.kd
    .uniform_work_group_size: 1
    .uses_dynamic_stack: false
    .vgpr_count:     45
    .vgpr_spill_count: 0
    .wavefront_size: 64
amdhsa.target:   amdgcn-amd-amdhsa--gfx906
amdhsa.version:
  - 1
  - 2
...

	.end_amdgpu_metadata
